;; amdgpu-corpus repo=ROCm/rocFFT kind=compiled arch=gfx1030 opt=O3
	.text
	.amdgcn_target "amdgcn-amd-amdhsa--gfx1030"
	.amdhsa_code_object_version 6
	.protected	bluestein_single_fwd_len490_dim1_dp_op_CI_CI ; -- Begin function bluestein_single_fwd_len490_dim1_dp_op_CI_CI
	.globl	bluestein_single_fwd_len490_dim1_dp_op_CI_CI
	.p2align	8
	.type	bluestein_single_fwd_len490_dim1_dp_op_CI_CI,@function
bluestein_single_fwd_len490_dim1_dp_op_CI_CI: ; @bluestein_single_fwd_len490_dim1_dp_op_CI_CI
; %bb.0:
	s_load_dwordx4 s[0:3], s[4:5], 0x28
	v_mul_u32_u24_e32 v1, 0x3a9, v0
	v_lshrrev_b32_e32 v1, 16, v1
	v_mad_u64_u32 v[88:89], null, s6, 3, v[1:2]
	v_mov_b32_e32 v89, 0
	s_waitcnt lgkmcnt(0)
	v_cmp_gt_u64_e32 vcc_lo, s[0:1], v[88:89]
	s_and_saveexec_b32 s0, vcc_lo
	s_cbranch_execz .LBB0_15
; %bb.1:
	v_mul_hi_u32 v2, 0xaaaaaaab, v88
	s_clause 0x1
	s_load_dwordx2 s[14:15], s[4:5], 0x0
	s_load_dwordx2 s[12:13], s[4:5], 0x38
	v_mul_lo_u16 v1, 0x46, v1
	v_sub_nc_u16 v0, v0, v1
	v_lshrrev_b32_e32 v2, 1, v2
	v_and_b32_e32 v109, 0xffff, v0
	v_lshl_add_u32 v2, v2, 1, v2
	v_cmp_gt_u16_e32 vcc_lo, 49, v0
	v_lshlrev_b32_e32 v110, 4, v109
	v_sub_nc_u32_e32 v1, v88, v2
	v_mul_u32_u24_e32 v113, 0x1ea, v1
	v_lshlrev_b32_e32 v111, 4, v113
	s_and_saveexec_b32 s1, vcc_lo
	s_cbranch_execz .LBB0_3
; %bb.2:
	s_load_dwordx2 s[6:7], s[4:5], 0x18
	s_waitcnt lgkmcnt(0)
	v_add_co_u32 v18, s0, s14, v110
	v_add_co_ci_u32_e64 v19, null, s15, 0, s0
	v_add_co_u32 v20, s0, 0x800, v18
	v_add_co_ci_u32_e64 v21, s0, 0, v19, s0
	v_add_co_u32 v28, s0, 0x1000, v18
	v_add_co_ci_u32_e64 v29, s0, 0, v19, s0
	;; [unrolled: 2-line block ×3, first 2 shown]
	s_load_dwordx4 s[8:11], s[6:7], 0x0
	s_clause 0x1
	global_load_dwordx4 v[0:3], v110, s[14:15]
	global_load_dwordx4 v[4:7], v110, s[14:15] offset:784
	s_waitcnt lgkmcnt(0)
	v_mad_u64_u32 v[12:13], null, s10, v88, 0
	v_mad_u64_u32 v[14:15], null, s8, v109, 0
	s_mul_i32 s6, s9, 0x310
	s_mul_hi_u32 s7, s8, 0x310
	s_add_i32 s7, s7, s6
	v_mov_b32_e32 v8, v13
	v_mov_b32_e32 v13, v15
	v_mad_u64_u32 v[15:16], null, s11, v88, v[8:9]
	v_mad_u64_u32 v[16:17], null, s9, v109, v[13:14]
	global_load_dwordx4 v[8:11], v110, s[14:15] offset:1568
	v_mov_b32_e32 v13, v15
	v_mov_b32_e32 v15, v16
	v_lshlrev_b64 v[12:13], 4, v[12:13]
	v_lshlrev_b64 v[14:15], 4, v[14:15]
	v_add_co_u32 v12, s0, s2, v12
	v_add_co_ci_u32_e64 v13, s0, s3, v13, s0
	s_mul_i32 s2, s8, 0x310
	v_add_co_u32 v32, s0, v12, v14
	v_add_co_ci_u32_e64 v33, s0, v13, v15, s0
	s_clause 0x1
	global_load_dwordx4 v[12:15], v[20:21], off offset:304
	global_load_dwordx4 v[16:19], v[20:21], off offset:1088
	v_add_co_u32 v36, s0, v32, s2
	v_add_co_ci_u32_e64 v37, s0, s7, v33, s0
	global_load_dwordx4 v[20:23], v[20:21], off offset:1872
	v_add_co_u32 v40, s0, v36, s2
	v_add_co_ci_u32_e64 v41, s0, s7, v37, s0
	s_clause 0x1
	global_load_dwordx4 v[24:27], v[28:29], off offset:608
	global_load_dwordx4 v[28:31], v[28:29], off offset:1392
	v_add_co_u32 v44, s0, v40, s2
	v_add_co_ci_u32_e64 v45, s0, s7, v41, s0
	s_clause 0x1
	global_load_dwordx4 v[32:35], v[32:33], off
	global_load_dwordx4 v[36:39], v[36:37], off
	v_add_co_u32 v48, s0, v44, s2
	v_add_co_ci_u32_e64 v49, s0, s7, v45, s0
	s_clause 0x1
	global_load_dwordx4 v[40:43], v[40:41], off
	global_load_dwordx4 v[44:47], v[44:45], off
	v_add_co_u32 v52, s0, v48, s2
	v_add_co_ci_u32_e64 v53, s0, s7, v49, s0
	global_load_dwordx4 v[48:51], v[48:49], off
	v_add_co_u32 v56, s0, v52, s2
	v_add_co_ci_u32_e64 v57, s0, s7, v53, s0
	;; [unrolled: 3-line block ×4, first 2 shown]
	v_add_co_u32 v76, s0, v64, s2
	v_add_co_ci_u32_e64 v77, s0, s7, v65, s0
	global_load_dwordx4 v[60:63], v[60:61], off
	global_load_dwordx4 v[64:67], v[64:65], off
	s_clause 0x1
	global_load_dwordx4 v[68:71], v[72:73], off offset:128
	global_load_dwordx4 v[72:75], v[72:73], off offset:912
	global_load_dwordx4 v[76:79], v[76:77], off
	s_waitcnt vmcnt(11)
	v_mul_f64 v[80:81], v[34:35], v[2:3]
	v_mul_f64 v[2:3], v[32:33], v[2:3]
	s_waitcnt vmcnt(10)
	v_mul_f64 v[82:83], v[38:39], v[6:7]
	v_mul_f64 v[6:7], v[36:37], v[6:7]
	;; [unrolled: 3-line block ×10, first 2 shown]
	v_fma_f64 v[30:31], v[32:33], v[0:1], v[80:81]
	v_fma_f64 v[32:33], v[34:35], v[0:1], -v[2:3]
	v_fma_f64 v[0:1], v[36:37], v[4:5], v[82:83]
	v_fma_f64 v[2:3], v[38:39], v[4:5], -v[6:7]
	;; [unrolled: 2-line block ×10, first 2 shown]
	v_lshl_add_u32 v28, v109, 4, v111
	v_add_nc_u32_e32 v29, v111, v110
	ds_write_b128 v28, v[30:33]
	ds_write_b128 v29, v[0:3] offset:784
	ds_write_b128 v29, v[4:7] offset:1568
	;; [unrolled: 1-line block ×9, first 2 shown]
.LBB0_3:
	s_or_b32 exec_lo, exec_lo, s1
	s_clause 0x1
	s_load_dwordx2 s[2:3], s[4:5], 0x20
	s_load_dwordx2 s[0:1], s[4:5], 0x8
	s_waitcnt lgkmcnt(0)
	s_barrier
	buffer_gl0_inv
                                        ; implicit-def: $vgpr0_vgpr1
                                        ; implicit-def: $vgpr4_vgpr5
                                        ; implicit-def: $vgpr20_vgpr21
                                        ; implicit-def: $vgpr24_vgpr25
                                        ; implicit-def: $vgpr28_vgpr29
                                        ; implicit-def: $vgpr32_vgpr33
                                        ; implicit-def: $vgpr36_vgpr37
                                        ; implicit-def: $vgpr40_vgpr41
                                        ; implicit-def: $vgpr44_vgpr45
                                        ; implicit-def: $vgpr48_vgpr49
	s_and_saveexec_b32 s4, vcc_lo
	s_cbranch_execz .LBB0_5
; %bb.4:
	v_lshl_add_u32 v8, v113, 4, v110
	ds_read_b128 v[0:3], v8
	ds_read_b128 v[4:7], v8 offset:784
	ds_read_b128 v[20:23], v8 offset:1568
	;; [unrolled: 1-line block ×9, first 2 shown]
.LBB0_5:
	s_or_b32 exec_lo, exec_lo, s4
	s_waitcnt lgkmcnt(0)
	v_add_f64 v[8:9], v[26:27], v[50:51]
	v_add_f64 v[10:11], v[24:25], v[48:49]
	;; [unrolled: 1-line block ×4, first 2 shown]
	v_add_f64 v[52:53], v[32:33], -v[40:41]
	v_add_f64 v[56:57], v[34:35], -v[42:43]
	;; [unrolled: 1-line block ×4, first 2 shown]
	s_mov_b32 s4, 0x134454ff
	s_mov_b32 s5, 0x3fee6f0e
	;; [unrolled: 1-line block ×4, first 2 shown]
	v_add_f64 v[16:17], v[22:23], v[46:47]
	v_add_f64 v[18:19], v[34:35], -v[26:27]
	v_add_f64 v[66:67], v[42:43], -v[50:51]
	v_add_f64 v[72:73], v[30:31], v[38:39]
	v_add_f64 v[74:75], v[24:25], -v[32:33]
	v_add_f64 v[76:77], v[32:33], -v[24:25]
	;; [unrolled: 1-line block ×6, first 2 shown]
	v_fma_f64 v[8:9], v[8:9], -0.5, v[6:7]
	v_fma_f64 v[10:11], v[10:11], -0.5, v[4:5]
	;; [unrolled: 1-line block ×4, first 2 shown]
	v_add_f64 v[12:13], v[28:29], v[36:37]
	v_add_f64 v[14:15], v[20:21], v[44:45]
	s_mov_b32 s6, 0x4755a5e
	s_mov_b32 s7, 0x3fe2cf23
	;; [unrolled: 1-line block ×4, first 2 shown]
	v_add_f64 v[60:61], v[22:23], -v[46:47]
	v_add_f64 v[62:63], v[30:31], -v[38:39]
	;; [unrolled: 1-line block ×4, first 2 shown]
	v_fma_f64 v[16:17], v[16:17], -0.5, v[2:3]
	v_add_f64 v[18:19], v[18:19], v[66:67]
	v_fma_f64 v[72:73], v[72:73], -0.5, v[2:3]
	s_mov_b32 s8, 0x372fe950
	s_mov_b32 s9, 0x3fd3c6ef
	v_add_f64 v[95:96], v[74:75], v[82:83]
	v_add_f64 v[99:100], v[44:45], -v[36:37]
	v_add_f64 v[74:75], v[84:85], v[86:87]
	v_fma_f64 v[89:90], v[52:53], s[4:5], v[8:9]
	v_fma_f64 v[91:92], v[56:57], s[4:5], v[10:11]
	;; [unrolled: 1-line block ×6, first 2 shown]
	v_fma_f64 v[14:15], v[14:15], -0.5, v[0:1]
	v_fma_f64 v[66:67], v[12:13], -0.5, v[0:1]
	v_add_f64 v[12:13], v[76:77], v[80:81]
	v_add_f64 v[86:87], v[28:29], -v[20:21]
	v_add_f64 v[101:102], v[22:23], -v[30:31]
	;; [unrolled: 1-line block ×3, first 2 shown]
	s_mov_b32 s10, 0x9b97f4a8
	s_mov_b32 s11, 0x3fe9e377
	v_fma_f64 v[107:108], v[64:65], s[4:5], v[16:17]
	v_fma_f64 v[16:17], v[64:65], s[16:17], v[16:17]
	;; [unrolled: 1-line block ×3, first 2 shown]
	v_mul_lo_u16 v112, v109, 10
	s_barrier
	buffer_gl0_inv
	v_fma_f64 v[76:77], v[68:69], s[18:19], v[89:90]
	v_fma_f64 v[80:81], v[70:71], s[18:19], v[91:92]
	;; [unrolled: 1-line block ×6, first 2 shown]
	v_add_f64 v[89:90], v[36:37], -v[44:45]
	v_add_f64 v[91:92], v[30:31], -v[22:23]
	;; [unrolled: 1-line block ×4, first 2 shown]
	v_fma_f64 v[105:106], v[62:63], s[16:17], v[14:15]
	v_fma_f64 v[14:15], v[62:63], s[4:5], v[14:15]
	;; [unrolled: 1-line block ×10, first 2 shown]
	v_add_f64 v[80:81], v[86:87], v[89:90]
	v_fma_f64 v[84:85], v[78:79], s[18:19], v[107:108]
	v_add_f64 v[82:83], v[91:92], v[93:94]
	v_add_f64 v[91:92], v[97:98], v[99:100]
	;; [unrolled: 1-line block ×3, first 2 shown]
	v_fma_f64 v[76:77], v[60:61], s[6:7], v[105:106]
	v_fma_f64 v[14:15], v[60:61], s[18:19], v[14:15]
	;; [unrolled: 1-line block ×4, first 2 shown]
	v_mul_f64 v[101:102], v[118:119], s[4:5]
	v_mul_f64 v[105:106], v[120:121], s[8:9]
	;; [unrolled: 1-line block ×6, first 2 shown]
	v_fma_f64 v[97:98], v[82:83], s[8:9], v[84:85]
	v_fma_f64 v[99:100], v[82:83], s[8:9], v[16:17]
	;; [unrolled: 1-line block ×7, first 2 shown]
	v_fma_f64 v[86:87], v[8:9], s[4:5], -v[105:106]
	v_fma_f64 v[101:102], v[118:119], s[8:9], v[107:108]
	v_fma_f64 v[105:106], v[120:121], s[16:17], -v[114:115]
	v_fma_f64 v[89:90], v[18:19], s[6:7], -v[116:117]
	;; [unrolled: 1-line block ×3, first 2 shown]
	v_add_f64 v[12:13], v[76:77], -v[82:83]
	v_add_f64 v[8:9], v[80:81], -v[86:87]
	;; [unrolled: 1-line block ×6, first 2 shown]
	s_and_saveexec_b32 s16, vcc_lo
	s_cbranch_execz .LBB0_7
; %bb.6:
	v_mul_f64 v[70:71], v[70:71], s[4:5]
	v_mul_f64 v[56:57], v[56:57], s[6:7]
	;; [unrolled: 1-line block ×3, first 2 shown]
	v_add_f64 v[2:3], v[2:3], v[22:23]
	v_add_f64 v[6:7], v[6:7], v[26:27]
	;; [unrolled: 1-line block ×4, first 2 shown]
	v_mul_f64 v[20:21], v[52:53], s[6:7]
	v_mul_f64 v[26:27], v[60:61], s[4:5]
	;; [unrolled: 1-line block ×3, first 2 shown]
	v_add_f64 v[58:59], v[58:59], v[70:71]
	v_mul_f64 v[70:71], v[78:79], s[4:5]
	v_mul_f64 v[78:79], v[95:96], s[8:9]
	v_add_f64 v[22:23], v[54:55], -v[68:69]
	v_add_f64 v[2:3], v[2:3], v[30:31]
	v_add_f64 v[6:7], v[6:7], v[34:35]
	;; [unrolled: 1-line block ×4, first 2 shown]
	v_mul_f64 v[54:55], v[64:65], s[6:7]
	v_mul_f64 v[30:31], v[93:94], s[8:9]
	v_add_f64 v[24:25], v[56:57], v[58:59]
	v_mul_f64 v[56:57], v[74:75], s[8:9]
	v_add_f64 v[28:29], v[72:73], -v[70:71]
	v_add_f64 v[20:21], v[22:23], -v[20:21]
	v_add_f64 v[2:3], v[2:3], v[38:39]
	v_add_f64 v[6:7], v[6:7], v[42:43]
	;; [unrolled: 1-line block ×6, first 2 shown]
	v_mul_f64 v[26:27], v[91:92], s[8:9]
	v_add_f64 v[28:29], v[28:29], -v[54:55]
	v_add_f64 v[20:21], v[56:57], v[20:21]
	v_add_f64 v[34:35], v[2:3], v[46:47]
	;; [unrolled: 1-line block ×9, first 2 shown]
	v_mul_f64 v[32:33], v[22:23], s[6:7]
	v_add_f64 v[24:25], v[52:53], v[24:25]
	v_mul_f64 v[22:23], v[22:23], s[10:11]
	v_add_f64 v[42:43], v[30:31], v[28:29]
	v_add_f64 v[30:31], v[34:35], v[36:37]
	;; [unrolled: 1-line block ×3, first 2 shown]
	v_fma_f64 v[32:33], v[20:21], s[10:11], -v[32:33]
	v_add_f64 v[44:45], v[26:27], v[24:25]
	v_fma_f64 v[46:47], v[20:21], s[6:7], v[22:23]
	v_add_f64 v[22:23], v[97:98], v[101:102]
	v_add_f64 v[20:21], v[76:77], v[82:83]
	v_add_f64 v[26:27], v[34:35], -v[36:37]
	v_add_f64 v[24:25], v[38:39], -v[40:41]
	v_and_b32_e32 v40, 0xffff, v112
	v_add_lshl_u32 v40, v113, v40, 4
	v_add_f64 v[38:39], v[42:43], v[32:33]
	v_add_f64 v[34:35], v[42:43], -v[32:33]
	v_add_f64 v[36:37], v[44:45], v[46:47]
	v_add_f64 v[32:33], v[44:45], -v[46:47]
	ds_write_b128 v40, v[12:15] offset:112
	ds_write_b128 v40, v[8:11] offset:128
	;; [unrolled: 1-line block ×5, first 2 shown]
	ds_write_b128 v40, v[28:31]
	ds_write_b128 v40, v[24:27] offset:80
	ds_write_b128 v40, v[36:39] offset:16
	;; [unrolled: 1-line block ×4, first 2 shown]
.LBB0_7:
	s_or_b32 exec_lo, exec_lo, s16
	v_and_b32_e32 v0, 0xff, v109
	v_mov_b32_e32 v1, 6
	s_load_dwordx4 s[4:7], s[2:3], 0x0
	s_waitcnt lgkmcnt(0)
	s_barrier
	v_mul_lo_u16 v0, 0xcd, v0
	buffer_gl0_inv
	v_add_lshl_u32 v89, v113, v109, 4
	s_mov_b32 s8, 0x37e14327
	s_mov_b32 s18, 0xe976ee23
	v_lshrrev_b16 v84, 11, v0
	s_mov_b32 s9, 0x3fe948f6
	s_mov_b32 s19, 0xbfe11646
	;; [unrolled: 1-line block ×4, first 2 shown]
	v_mul_lo_u16 v0, v84, 10
	s_mov_b32 s11, 0x3febfeb5
	s_mov_b32 s3, 0x3fac98ee
	;; [unrolled: 1-line block ×4, first 2 shown]
	v_sub_nc_u16 v85, v109, v0
	s_mov_b32 s17, 0xbff2aaaa
	s_mov_b32 s20, 0x5476071b
	;; [unrolled: 1-line block ×4, first 2 shown]
	v_mul_u32_u24_sdwa v0, v85, v1 dst_sel:DWORD dst_unused:UNUSED_PAD src0_sel:BYTE_0 src1_sel:DWORD
	s_mov_b32 s23, 0xbfe77f67
	s_mov_b32 s27, 0xbfd5d0dc
	;; [unrolled: 1-line block ×4, first 2 shown]
	v_lshlrev_b32_e32 v24, 4, v0
	s_mov_b32 s28, 0x37c3f68c
	s_mov_b32 s29, 0x3fdc38aa
	v_lshl_add_u32 v90, v109, 4, v111
	s_clause 0x5
	global_load_dwordx4 v[4:7], v24, s[0:1]
	global_load_dwordx4 v[0:3], v24, s[0:1] offset:16
	global_load_dwordx4 v[20:23], v24, s[0:1] offset:80
	global_load_dwordx4 v[32:35], v24, s[0:1] offset:64
	global_load_dwordx4 v[28:31], v24, s[0:1] offset:32
	global_load_dwordx4 v[24:27], v24, s[0:1] offset:48
	ds_read_b128 v[36:39], v89 offset:1120
	ds_read_b128 v[40:43], v89 offset:2240
	;; [unrolled: 1-line block ×6, first 2 shown]
	s_waitcnt vmcnt(5) lgkmcnt(5)
	v_mul_f64 v[60:61], v[38:39], v[6:7]
	v_mul_f64 v[62:63], v[36:37], v[6:7]
	s_waitcnt vmcnt(4) lgkmcnt(4)
	v_mul_f64 v[64:65], v[42:43], v[2:3]
	v_mul_f64 v[66:67], v[40:41], v[2:3]
	;; [unrolled: 3-line block ×6, first 2 shown]
	v_fma_f64 v[36:37], v[36:37], v[4:5], -v[60:61]
	v_fma_f64 v[38:39], v[38:39], v[4:5], v[62:63]
	v_fma_f64 v[40:41], v[40:41], v[0:1], -v[64:65]
	v_fma_f64 v[42:43], v[42:43], v[0:1], v[66:67]
	;; [unrolled: 2-line block ×6, first 2 shown]
	v_add_f64 v[60:61], v[36:37], v[44:45]
	v_add_f64 v[62:63], v[38:39], v[46:47]
	;; [unrolled: 1-line block ×4, first 2 shown]
	v_add_f64 v[40:41], v[40:41], -v[48:49]
	v_add_f64 v[42:43], v[42:43], -v[50:51]
	v_add_f64 v[48:49], v[52:53], v[56:57]
	v_add_f64 v[50:51], v[54:55], v[58:59]
	v_add_f64 v[52:53], v[56:57], -v[52:53]
	v_add_f64 v[54:55], v[58:59], -v[54:55]
	;; [unrolled: 1-line block ×4, first 2 shown]
	ds_read_b128 v[36:39], v89
	s_waitcnt lgkmcnt(0)
	s_barrier
	buffer_gl0_inv
	v_add_f64 v[56:57], v[64:65], v[60:61]
	v_add_f64 v[58:59], v[66:67], v[62:63]
	v_add_f64 v[68:69], v[60:61], -v[48:49]
	v_add_f64 v[70:71], v[62:63], -v[50:51]
	;; [unrolled: 1-line block ×6, first 2 shown]
	v_add_f64 v[40:41], v[52:53], v[40:41]
	v_add_f64 v[42:43], v[54:55], v[42:43]
	v_add_f64 v[52:53], v[44:45], -v[52:53]
	v_add_f64 v[54:55], v[46:47], -v[54:55]
	;; [unrolled: 1-line block ×4, first 2 shown]
	v_add_f64 v[56:57], v[48:49], v[56:57]
	v_add_f64 v[58:59], v[50:51], v[58:59]
	v_add_f64 v[48:49], v[48:49], -v[64:65]
	v_add_f64 v[50:51], v[50:51], -v[66:67]
	v_mul_f64 v[68:69], v[68:69], s[8:9]
	v_mul_f64 v[70:71], v[70:71], s[8:9]
	;; [unrolled: 1-line block ×6, first 2 shown]
	v_add_f64 v[40:41], v[40:41], v[44:45]
	v_add_f64 v[42:43], v[42:43], v[46:47]
	;; [unrolled: 1-line block ×4, first 2 shown]
	v_mul_f64 v[64:65], v[48:49], s[2:3]
	v_mul_f64 v[66:67], v[50:51], s[2:3]
	v_fma_f64 v[44:45], v[48:49], s[2:3], v[68:69]
	v_fma_f64 v[46:47], v[50:51], s[2:3], v[70:71]
	;; [unrolled: 1-line block ×4, first 2 shown]
	v_fma_f64 v[52:53], v[52:53], s[26:27], -v[80:81]
	v_fma_f64 v[54:55], v[54:55], s[26:27], -v[82:83]
	;; [unrolled: 1-line block ×6, first 2 shown]
	v_fma_f64 v[56:57], v[56:57], s[16:17], v[36:37]
	v_fma_f64 v[58:59], v[58:59], s[16:17], v[38:39]
	v_fma_f64 v[60:61], v[60:61], s[20:21], -v[64:65]
	v_fma_f64 v[62:63], v[62:63], s[20:21], -v[66:67]
	v_fma_f64 v[64:65], v[40:41], s[28:29], v[48:49]
	v_fma_f64 v[66:67], v[42:43], s[28:29], v[50:51]
	;; [unrolled: 1-line block ×6, first 2 shown]
	v_mov_b32_e32 v40, 0x46
	v_mul_u32_u24_sdwa v84, v84, v40 dst_sel:DWORD dst_unused:UNUSED_PAD src0_sel:WORD_0 src1_sel:DWORD
	v_add_f64 v[80:81], v[44:45], v[56:57]
	v_add_f64 v[82:83], v[46:47], v[58:59]
	;; [unrolled: 1-line block ×7, first 2 shown]
	v_add_f64 v[42:43], v[82:83], -v[64:65]
	v_add_f64 v[44:45], v[78:79], v[68:69]
	v_add_f64 v[46:47], v[70:71], -v[76:77]
	v_add_f64 v[48:49], v[52:53], -v[74:75]
	v_add_f64 v[50:51], v[72:73], v[54:55]
	v_add_f64 v[52:53], v[74:75], v[52:53]
	v_add_f64 v[54:55], v[54:55], -v[72:73]
	v_add_f64 v[56:57], v[68:69], -v[78:79]
	v_add_f64 v[58:59], v[76:77], v[70:71]
	v_add_f64 v[60:61], v[80:81], -v[66:67]
	v_add_f64 v[62:63], v[64:65], v[82:83]
	v_add_nc_u32_sdwa v64, v84, v85 dst_sel:DWORD dst_unused:UNUSED_PAD src0_sel:DWORD src1_sel:BYTE_0
	v_add_lshl_u32 v91, v113, v64, 4
	v_mad_u64_u32 v[64:65], null, 0x60, v109, s[0:1]
	ds_write_b128 v91, v[36:39]
	ds_write_b128 v91, v[40:43] offset:160
	ds_write_b128 v91, v[44:47] offset:320
	;; [unrolled: 1-line block ×6, first 2 shown]
	s_waitcnt lgkmcnt(0)
	s_barrier
	buffer_gl0_inv
	s_clause 0x5
	global_load_dwordx4 v[40:43], v[64:65], off offset:960
	global_load_dwordx4 v[36:39], v[64:65], off offset:976
	;; [unrolled: 1-line block ×6, first 2 shown]
	ds_read_b128 v[60:63], v89 offset:1120
	ds_read_b128 v[64:67], v89 offset:2240
	ds_read_b128 v[68:71], v89 offset:6720
	ds_read_b128 v[72:75], v89 offset:5600
	ds_read_b128 v[76:79], v89 offset:3360
	ds_read_b128 v[80:83], v89 offset:4480
	s_waitcnt vmcnt(5) lgkmcnt(5)
	v_mul_f64 v[84:85], v[62:63], v[42:43]
	v_mul_f64 v[86:87], v[60:61], v[42:43]
	s_waitcnt vmcnt(4) lgkmcnt(4)
	v_mul_f64 v[92:93], v[66:67], v[38:39]
	v_mul_f64 v[94:95], v[64:65], v[38:39]
	;; [unrolled: 3-line block ×6, first 2 shown]
	v_fma_f64 v[60:61], v[60:61], v[40:41], -v[84:85]
	v_fma_f64 v[62:63], v[62:63], v[40:41], v[86:87]
	v_fma_f64 v[64:65], v[64:65], v[36:37], -v[92:93]
	v_fma_f64 v[66:67], v[66:67], v[36:37], v[94:95]
	;; [unrolled: 2-line block ×6, first 2 shown]
	v_add_f64 v[84:85], v[60:61], v[68:69]
	v_add_f64 v[86:87], v[62:63], v[70:71]
	;; [unrolled: 1-line block ×4, first 2 shown]
	v_add_f64 v[64:65], v[64:65], -v[72:73]
	v_add_f64 v[66:67], v[66:67], -v[74:75]
	v_add_f64 v[72:73], v[76:77], v[80:81]
	v_add_f64 v[74:75], v[78:79], v[82:83]
	v_add_f64 v[76:77], v[80:81], -v[76:77]
	v_add_f64 v[78:79], v[82:83], -v[78:79]
	;; [unrolled: 1-line block ×4, first 2 shown]
	v_add_f64 v[60:61], v[92:93], v[84:85]
	v_add_f64 v[62:63], v[94:95], v[86:87]
	v_add_f64 v[80:81], v[84:85], -v[72:73]
	v_add_f64 v[82:83], v[86:87], -v[74:75]
	;; [unrolled: 1-line block ×6, first 2 shown]
	v_add_f64 v[64:65], v[76:77], v[64:65]
	v_add_f64 v[66:67], v[78:79], v[66:67]
	v_add_f64 v[76:77], v[68:69], -v[76:77]
	v_add_f64 v[78:79], v[70:71], -v[78:79]
	;; [unrolled: 1-line block ×4, first 2 shown]
	v_add_f64 v[104:105], v[72:73], v[60:61]
	v_add_f64 v[106:107], v[74:75], v[62:63]
	v_add_f64 v[72:73], v[72:73], -v[92:93]
	v_add_f64 v[74:75], v[74:75], -v[94:95]
	ds_read_b128 v[60:63], v89
	v_mul_f64 v[80:81], v[80:81], s[8:9]
	v_mul_f64 v[82:83], v[82:83], s[8:9]
	;; [unrolled: 1-line block ×6, first 2 shown]
	v_add_f64 v[64:65], v[64:65], v[68:69]
	v_add_f64 v[66:67], v[66:67], v[70:71]
	s_waitcnt lgkmcnt(0)
	v_add_f64 v[60:61], v[60:61], v[104:105]
	v_add_f64 v[62:63], v[62:63], v[106:107]
	v_mul_f64 v[92:93], v[72:73], s[2:3]
	v_mul_f64 v[94:95], v[74:75], s[2:3]
	v_fma_f64 v[68:69], v[72:73], s[2:3], v[80:81]
	v_fma_f64 v[70:71], v[74:75], s[2:3], v[82:83]
	;; [unrolled: 1-line block ×4, first 2 shown]
	v_fma_f64 v[96:97], v[100:101], s[10:11], -v[96:97]
	v_fma_f64 v[98:99], v[102:103], s[10:11], -v[98:99]
	;; [unrolled: 1-line block ×6, first 2 shown]
	v_fma_f64 v[100:101], v[104:105], s[16:17], v[60:61]
	v_fma_f64 v[102:103], v[106:107], s[16:17], v[62:63]
	v_fma_f64 v[84:85], v[84:85], s[20:21], -v[92:93]
	v_fma_f64 v[86:87], v[86:87], s[20:21], -v[94:95]
	v_fma_f64 v[92:93], v[64:65], s[28:29], v[72:73]
	v_fma_f64 v[94:95], v[66:67], s[28:29], v[74:75]
	;; [unrolled: 1-line block ×6, first 2 shown]
	v_add_f64 v[104:105], v[68:69], v[100:101]
	v_add_f64 v[106:107], v[70:71], v[102:103]
	;; [unrolled: 1-line block ×7, first 2 shown]
	v_add_f64 v[66:67], v[106:107], -v[92:93]
	v_add_f64 v[68:69], v[98:99], v[80:81]
	v_add_f64 v[70:71], v[82:83], -v[96:97]
	v_add_f64 v[76:77], v[84:85], -v[72:73]
	v_add_f64 v[78:79], v[74:75], v[86:87]
	v_add_f64 v[72:73], v[72:73], v[84:85]
	v_add_f64 v[74:75], v[86:87], -v[74:75]
	v_add_f64 v[84:85], v[80:81], -v[98:99]
	v_add_f64 v[86:87], v[96:97], v[82:83]
	v_add_f64 v[80:81], v[104:105], -v[94:95]
	v_add_f64 v[82:83], v[92:93], v[106:107]
	ds_write_b128 v90, v[60:63]
	ds_write_b128 v90, v[64:67] offset:1120
	ds_write_b128 v90, v[68:71] offset:2240
	;; [unrolled: 1-line block ×6, first 2 shown]
	s_waitcnt lgkmcnt(0)
	s_barrier
	buffer_gl0_inv
	s_and_saveexec_b32 s1, vcc_lo
	s_cbranch_execz .LBB0_9
; %bb.8:
	v_add_co_u32 v108, s0, s14, v110
	v_add_co_ci_u32_e64 v125, null, s15, 0, s0
	v_add_co_u32 v92, s0, 0x1800, v108
	v_add_co_ci_u32_e64 v93, s0, 0, v125, s0
	v_add_co_u32 v100, s0, 0x1ea0, v108
	v_add_co_ci_u32_e64 v101, s0, 0, v125, s0
	;; [unrolled: 2-line block ×4, first 2 shown]
	v_add_co_u32 v129, s0, 0x3000, v108
	s_clause 0x2
	global_load_dwordx4 v[92:95], v[92:93], off offset:1696
	global_load_dwordx4 v[96:99], v[100:101], off offset:784
	;; [unrolled: 1-line block ×3, first 2 shown]
	v_add_co_ci_u32_e64 v130, s0, 0, v125, s0
	v_add_co_u32 v133, s0, 0x3800, v108
	s_clause 0x3
	global_load_dwordx4 v[104:107], v[104:105], off offset:2000
	global_load_dwordx4 v[113:116], v[117:118], off offset:736
	;; [unrolled: 1-line block ×4, first 2 shown]
	v_add_co_ci_u32_e64 v134, s0, 0, v125, s0
	s_clause 0x2
	global_load_dwordx4 v[125:128], v[129:130], off offset:1040
	global_load_dwordx4 v[129:132], v[129:130], off offset:1824
	;; [unrolled: 1-line block ×3, first 2 shown]
	ds_read_b128 v[137:140], v90
	ds_read_b128 v[141:144], v90 offset:784
	ds_read_b128 v[145:148], v90 offset:1568
	;; [unrolled: 1-line block ×9, first 2 shown]
	s_waitcnt vmcnt(9) lgkmcnt(9)
	v_mul_f64 v[177:178], v[139:140], v[94:95]
	v_mul_f64 v[94:95], v[137:138], v[94:95]
	s_waitcnt vmcnt(8) lgkmcnt(8)
	v_mul_f64 v[179:180], v[143:144], v[98:99]
	v_mul_f64 v[98:99], v[141:142], v[98:99]
	;; [unrolled: 3-line block ×10, first 2 shown]
	v_fma_f64 v[135:136], v[137:138], v[92:93], -v[177:178]
	v_fma_f64 v[137:138], v[139:140], v[92:93], v[94:95]
	v_fma_f64 v[92:93], v[141:142], v[96:97], -v[179:180]
	v_fma_f64 v[94:95], v[143:144], v[96:97], v[98:99]
	;; [unrolled: 2-line block ×10, first 2 shown]
	ds_write_b128 v90, v[135:138]
	ds_write_b128 v90, v[92:95] offset:784
	ds_write_b128 v90, v[96:99] offset:1568
	;; [unrolled: 1-line block ×9, first 2 shown]
.LBB0_9:
	s_or_b32 exec_lo, exec_lo, s1
	s_waitcnt lgkmcnt(0)
	s_barrier
	buffer_gl0_inv
	s_and_saveexec_b32 s0, vcc_lo
	s_cbranch_execz .LBB0_11
; %bb.10:
	ds_read_b128 v[60:63], v90
	ds_read_b128 v[64:67], v90 offset:784
	ds_read_b128 v[68:71], v90 offset:1568
	;; [unrolled: 1-line block ×9, first 2 shown]
.LBB0_11:
	s_or_b32 exec_lo, exec_lo, s0
	s_waitcnt lgkmcnt(0)
	s_barrier
	buffer_gl0_inv
	s_and_saveexec_b32 s22, vcc_lo
	s_cbranch_execz .LBB0_13
; %bb.12:
	v_add_f64 v[92:93], v[86:87], v[14:15]
	v_add_f64 v[94:95], v[78:79], v[18:19]
	;; [unrolled: 1-line block ×3, first 2 shown]
	v_add_f64 v[117:118], v[78:79], -v[18:19]
	v_add_f64 v[121:122], v[76:77], -v[16:17]
	v_add_f64 v[123:124], v[76:77], v[16:17]
	v_add_f64 v[125:126], v[84:85], -v[12:13]
	s_mov_b32 s10, 0x134454ff
	s_mov_b32 s11, 0xbfee6f0e
	;; [unrolled: 1-line block ×4, first 2 shown]
	v_add_f64 v[102:103], v[74:75], v[82:83]
	v_add_f64 v[113:114], v[76:77], -v[84:85]
	v_add_f64 v[115:116], v[16:17], -v[12:13]
	;; [unrolled: 1-line block ×5, first 2 shown]
	v_add_f64 v[135:136], v[70:71], v[10:11]
	v_add_f64 v[141:142], v[86:87], -v[78:79]
	v_add_f64 v[143:144], v[14:15], -v[18:19]
	v_add_f64 v[155:156], v[72:73], v[80:81]
	v_add_f64 v[157:158], v[68:69], v[8:9]
	v_fma_f64 v[92:93], v[92:93], -0.5, v[66:67]
	v_fma_f64 v[94:95], v[94:95], -0.5, v[66:67]
	;; [unrolled: 1-line block ×3, first 2 shown]
	s_mov_b32 s16, 0x4755a5e
	v_add_f64 v[104:105], v[68:69], -v[8:9]
	v_fma_f64 v[123:124], v[123:124], -0.5, v[64:65]
	s_mov_b32 s17, 0xbfe2cf23
	s_mov_b32 s19, 0x3fe2cf23
	v_add_f64 v[145:146], v[62:63], v[70:71]
	v_add_f64 v[66:67], v[66:67], v[78:79]
	v_add_f64 v[78:79], v[68:69], -v[72:73]
	v_add_f64 v[161:162], v[72:73], -v[68:69]
	v_add_f64 v[68:69], v[60:61], v[68:69]
	v_add_f64 v[64:65], v[64:65], v[76:77]
	s_mov_b32 s18, s16
	v_add_f64 v[96:97], v[70:71], -v[74:75]
	v_add_f64 v[106:107], v[72:73], -v[80:81]
	;; [unrolled: 1-line block ×7, first 2 shown]
	v_fma_f64 v[149:150], v[121:122], s[10:11], v[92:93]
	v_fma_f64 v[151:152], v[125:126], s[2:3], v[94:95]
	;; [unrolled: 1-line block ×5, first 2 shown]
	v_fma_f64 v[76:77], v[102:103], -0.5, v[62:63]
	v_add_f64 v[102:103], v[113:114], v[115:116]
	v_fma_f64 v[62:63], v[135:136], -0.5, v[62:63]
	v_add_f64 v[113:114], v[127:128], v[129:130]
	v_add_f64 v[115:116], v[141:142], v[143:144]
	v_fma_f64 v[98:99], v[117:118], s[2:3], v[98:99]
	v_fma_f64 v[127:128], v[119:120], s[10:11], v[123:124]
	;; [unrolled: 1-line block ×3, first 2 shown]
	v_fma_f64 v[141:142], v[155:156], -0.5, v[60:61]
	v_fma_f64 v[60:61], v[157:158], -0.5, v[60:61]
	s_mov_b32 s0, 0x372fe950
	s_mov_b32 s1, 0x3fd3c6ef
	v_add_f64 v[74:75], v[145:146], v[74:75]
	v_add_f64 v[66:67], v[66:67], v[86:87]
	;; [unrolled: 1-line block ×4, first 2 shown]
	v_add_f64 v[100:101], v[10:11], -v[82:83]
	v_fma_f64 v[129:130], v[125:126], s[16:17], v[149:150]
	v_fma_f64 v[135:136], v[121:122], s[16:17], v[151:152]
	;; [unrolled: 1-line block ×5, first 2 shown]
	v_add_f64 v[133:134], v[82:83], -v[10:11]
	v_add_f64 v[147:148], v[8:9], -v[80:81]
	v_add_f64 v[125:126], v[137:138], v[139:140]
	v_fma_f64 v[72:73], v[104:105], s[10:11], v[76:77]
	v_fma_f64 v[84:85], v[106:107], s[2:3], v[62:63]
	;; [unrolled: 1-line block ×9, first 2 shown]
	v_add_f64 v[163:164], v[80:81], -v[8:9]
	s_mov_b32 s8, 0x9b97f4a8
	s_mov_b32 s9, 0xbfe9e377
	;; [unrolled: 1-line block ×4, first 2 shown]
	v_fma_f64 v[119:120], v[113:114], s[0:1], v[129:130]
	v_fma_f64 v[123:124], v[115:116], s[0:1], v[135:136]
	;; [unrolled: 1-line block ×7, first 2 shown]
	v_add_f64 v[74:75], v[74:75], v[82:83]
	v_add_f64 v[14:15], v[66:67], v[14:15]
	;; [unrolled: 1-line block ×7, first 2 shown]
	v_fma_f64 v[64:65], v[106:107], s[16:17], v[72:73]
	v_fma_f64 v[68:69], v[104:105], s[16:17], v[84:85]
	;; [unrolled: 1-line block ×8, first 2 shown]
	v_mul_f64 v[84:85], v[119:120], s[8:9]
	v_mul_f64 v[86:87], v[123:124], s[20:21]
	;; [unrolled: 1-line block ×4, first 2 shown]
	v_fma_f64 v[104:105], v[159:160], s[18:19], v[121:122]
	v_fma_f64 v[60:61], v[70:71], s[16:17], v[60:61]
	;; [unrolled: 1-line block ×3, first 2 shown]
	v_mul_f64 v[117:118], v[92:93], s[16:17]
	v_add_f64 v[113:114], v[161:162], v[163:164]
	v_mul_f64 v[94:95], v[94:95], s[10:11]
	v_mul_f64 v[121:122], v[123:124], s[10:11]
	;; [unrolled: 1-line block ×3, first 2 shown]
	s_mov_b32 s11, 0x3fe9e377
	s_mov_b32 s10, s8
	v_add_f64 v[74:75], v[74:75], v[10:11]
	v_add_f64 v[14:15], v[14:15], v[18:19]
	;; [unrolled: 1-line block ×4, first 2 shown]
	v_fma_f64 v[16:17], v[96:97], s[0:1], v[64:65]
	v_fma_f64 v[64:65], v[100:101], s[0:1], v[68:69]
	;; [unrolled: 1-line block ×16, first 2 shown]
	v_add_f64 v[10:11], v[74:75], -v[14:15]
	v_add_f64 v[14:15], v[74:75], v[14:15]
	v_add_f64 v[8:9], v[18:19], -v[12:13]
	v_add_f64 v[12:13], v[18:19], v[12:13]
	v_add_f64 v[18:19], v[16:17], -v[84:85]
	v_add_f64 v[62:63], v[64:65], -v[86:87]
	v_add_f64 v[74:75], v[16:17], v[84:85]
	v_add_f64 v[78:79], v[64:65], v[86:87]
	;; [unrolled: 1-line block ×4, first 2 shown]
	v_add_f64 v[70:71], v[72:73], -v[92:93]
	v_add_f64 v[84:85], v[102:103], v[104:105]
	v_add_f64 v[66:67], v[68:69], -v[96:97]
	v_add_f64 v[80:81], v[60:61], v[94:95]
	;; [unrolled: 2-line block ×3, first 2 shown]
	v_add_f64 v[72:73], v[98:99], v[113:114]
	v_add_f64 v[64:65], v[60:61], -v[94:95]
	v_add_f64 v[60:61], v[100:101], -v[106:107]
	;; [unrolled: 1-line block ×3, first 2 shown]
	v_and_b32_e32 v92, 0xffff, v112
	v_lshl_add_u32 v92, v92, 4, v111
	ds_write_b128 v92, v[12:15]
	ds_write_b128 v92, v[8:11] offset:80
	ds_write_b128 v92, v[84:87] offset:16
	ds_write_b128 v92, v[80:83] offset:32
	ds_write_b128 v92, v[76:79] offset:48
	ds_write_b128 v92, v[72:75] offset:64
	ds_write_b128 v92, v[68:71] offset:96
	ds_write_b128 v92, v[64:67] offset:112
	ds_write_b128 v92, v[60:63] offset:128
	ds_write_b128 v92, v[16:19] offset:144
.LBB0_13:
	s_or_b32 exec_lo, exec_lo, s22
	s_waitcnt lgkmcnt(0)
	s_barrier
	buffer_gl0_inv
	ds_read_b128 v[8:11], v89 offset:1120
	ds_read_b128 v[12:15], v89 offset:2240
	;; [unrolled: 1-line block ×6, first 2 shown]
	s_mov_b32 s2, 0x37e14327
	s_mov_b32 s16, 0xe976ee23
	;; [unrolled: 1-line block ×14, first 2 shown]
	s_waitcnt lgkmcnt(5)
	v_mul_f64 v[72:73], v[6:7], v[10:11]
	v_mul_f64 v[6:7], v[6:7], v[8:9]
	s_waitcnt lgkmcnt(4)
	v_mul_f64 v[74:75], v[2:3], v[14:15]
	v_mul_f64 v[2:3], v[2:3], v[12:13]
	s_waitcnt lgkmcnt(3)
	v_mul_f64 v[76:77], v[22:23], v[18:19]
	v_mul_f64 v[22:23], v[22:23], v[16:17]
	s_waitcnt lgkmcnt(2)
	v_mul_f64 v[78:79], v[34:35], v[62:63]
	v_mul_f64 v[34:35], v[34:35], v[60:61]
	s_waitcnt lgkmcnt(1)
	v_mul_f64 v[80:81], v[30:31], v[66:67]
	v_mul_f64 v[30:31], v[30:31], v[64:65]
	s_waitcnt lgkmcnt(0)
	v_mul_f64 v[82:83], v[26:27], v[70:71]
	v_mul_f64 v[26:27], v[26:27], v[68:69]
	s_mov_b32 s21, 0xbfe77f67
	s_mov_b32 s25, 0x3fd5d0dc
	;; [unrolled: 1-line block ×6, first 2 shown]
	v_fma_f64 v[8:9], v[4:5], v[8:9], v[72:73]
	v_fma_f64 v[4:5], v[4:5], v[10:11], -v[6:7]
	v_fma_f64 v[6:7], v[0:1], v[12:13], v[74:75]
	v_fma_f64 v[0:1], v[0:1], v[14:15], -v[2:3]
	;; [unrolled: 2-line block ×6, first 2 shown]
	v_add_f64 v[24:25], v[8:9], v[2:3]
	v_add_f64 v[26:27], v[4:5], v[10:11]
	;; [unrolled: 1-line block ×4, first 2 shown]
	v_add_f64 v[6:7], v[6:7], -v[12:13]
	v_add_f64 v[12:13], v[0:1], -v[14:15]
	v_add_f64 v[14:15], v[16:17], v[20:21]
	v_add_f64 v[32:33], v[18:19], v[22:23]
	v_add_f64 v[16:17], v[20:21], -v[16:17]
	v_add_f64 v[18:19], v[22:23], -v[18:19]
	;; [unrolled: 1-line block ×4, first 2 shown]
	ds_read_b128 v[0:3], v89
	s_waitcnt lgkmcnt(0)
	s_barrier
	buffer_gl0_inv
	v_add_f64 v[10:11], v[28:29], v[24:25]
	v_add_f64 v[20:21], v[30:31], v[26:27]
	v_add_f64 v[22:23], v[24:25], -v[14:15]
	v_add_f64 v[34:35], v[26:27], -v[32:33]
	;; [unrolled: 1-line block ×6, first 2 shown]
	v_add_f64 v[6:7], v[16:17], v[6:7]
	v_add_f64 v[12:13], v[18:19], v[12:13]
	v_add_f64 v[16:17], v[8:9], -v[16:17]
	v_add_f64 v[18:19], v[4:5], -v[18:19]
	;; [unrolled: 1-line block ×4, first 2 shown]
	v_add_f64 v[10:11], v[14:15], v[10:11]
	v_add_f64 v[20:21], v[32:33], v[20:21]
	v_add_f64 v[14:15], v[14:15], -v[28:29]
	v_add_f64 v[32:33], v[32:33], -v[30:31]
	v_mul_f64 v[22:23], v[22:23], s[2:3]
	v_mul_f64 v[34:35], v[34:35], s[2:3]
	;; [unrolled: 1-line block ×6, first 2 shown]
	v_add_f64 v[6:7], v[6:7], v[8:9]
	v_add_f64 v[4:5], v[12:13], v[4:5]
	;; [unrolled: 1-line block ×4, first 2 shown]
	v_mul_f64 v[28:29], v[14:15], s[0:1]
	v_mul_f64 v[30:31], v[32:33], s[0:1]
	v_fma_f64 v[8:9], v[14:15], s[0:1], v[22:23]
	v_fma_f64 v[12:13], v[32:33], s[0:1], v[34:35]
	v_fma_f64 v[14:15], v[16:17], s[22:23], v[60:61]
	v_fma_f64 v[32:33], v[18:19], s[22:23], v[62:63]
	v_fma_f64 v[60:61], v[64:65], s[8:9], -v[60:61]
	v_fma_f64 v[62:63], v[66:67], s[8:9], -v[62:63]
	;; [unrolled: 1-line block ×6, first 2 shown]
	v_fma_f64 v[10:11], v[10:11], s[10:11], v[0:1]
	v_fma_f64 v[20:21], v[20:21], s[10:11], v[2:3]
	v_fma_f64 v[24:25], v[24:25], s[18:19], -v[28:29]
	v_fma_f64 v[26:27], v[26:27], s[18:19], -v[30:31]
	v_fma_f64 v[28:29], v[6:7], s[26:27], v[14:15]
	v_fma_f64 v[30:31], v[4:5], s[26:27], v[32:33]
	;; [unrolled: 1-line block ×6, first 2 shown]
	v_add_f64 v[66:67], v[8:9], v[10:11]
	v_add_f64 v[68:69], v[12:13], v[20:21]
	;; [unrolled: 1-line block ×7, first 2 shown]
	v_add_f64 v[6:7], v[68:69], -v[28:29]
	v_add_f64 v[8:9], v[64:65], v[22:23]
	v_add_f64 v[10:11], v[34:35], -v[62:63]
	v_add_f64 v[12:13], v[16:17], -v[60:61]
	v_add_f64 v[14:15], v[32:33], v[18:19]
	v_add_f64 v[16:17], v[60:61], v[16:17]
	v_add_f64 v[18:19], v[18:19], -v[32:33]
	v_add_f64 v[20:21], v[22:23], -v[64:65]
	v_add_f64 v[22:23], v[62:63], v[34:35]
	v_add_f64 v[24:25], v[66:67], -v[30:31]
	v_add_f64 v[26:27], v[28:29], v[68:69]
	ds_write_b128 v91, v[0:3]
	ds_write_b128 v91, v[4:7] offset:160
	ds_write_b128 v91, v[8:11] offset:320
	;; [unrolled: 1-line block ×6, first 2 shown]
	s_waitcnt lgkmcnt(0)
	s_barrier
	buffer_gl0_inv
	ds_read_b128 v[0:3], v89 offset:1120
	ds_read_b128 v[4:7], v89 offset:2240
	;; [unrolled: 1-line block ×6, first 2 shown]
	s_waitcnt lgkmcnt(5)
	v_mul_f64 v[24:25], v[42:43], v[2:3]
	v_mul_f64 v[26:27], v[42:43], v[0:1]
	s_waitcnt lgkmcnt(4)
	v_mul_f64 v[28:29], v[38:39], v[6:7]
	v_mul_f64 v[30:31], v[38:39], v[4:5]
	;; [unrolled: 3-line block ×6, first 2 shown]
	v_fma_f64 v[0:1], v[40:41], v[0:1], v[24:25]
	v_fma_f64 v[2:3], v[40:41], v[2:3], -v[26:27]
	v_fma_f64 v[4:5], v[36:37], v[4:5], v[28:29]
	v_fma_f64 v[6:7], v[36:37], v[6:7], -v[30:31]
	;; [unrolled: 2-line block ×6, first 2 shown]
	v_add_f64 v[24:25], v[0:1], v[8:9]
	v_add_f64 v[26:27], v[2:3], v[10:11]
	;; [unrolled: 1-line block ×4, first 2 shown]
	v_add_f64 v[4:5], v[4:5], -v[12:13]
	v_add_f64 v[6:7], v[6:7], -v[14:15]
	v_add_f64 v[12:13], v[16:17], v[20:21]
	v_add_f64 v[14:15], v[18:19], v[22:23]
	v_add_f64 v[16:17], v[20:21], -v[16:17]
	v_add_f64 v[18:19], v[22:23], -v[18:19]
	;; [unrolled: 1-line block ×4, first 2 shown]
	v_add_f64 v[0:1], v[28:29], v[24:25]
	v_add_f64 v[2:3], v[30:31], v[26:27]
	v_add_f64 v[20:21], v[24:25], -v[12:13]
	v_add_f64 v[22:23], v[26:27], -v[14:15]
	;; [unrolled: 1-line block ×6, first 2 shown]
	v_add_f64 v[4:5], v[16:17], v[4:5]
	v_add_f64 v[6:7], v[18:19], v[6:7]
	v_add_f64 v[16:17], v[8:9], -v[16:17]
	v_add_f64 v[18:19], v[10:11], -v[18:19]
	;; [unrolled: 1-line block ×4, first 2 shown]
	v_add_f64 v[40:41], v[12:13], v[0:1]
	v_add_f64 v[42:43], v[14:15], v[2:3]
	ds_read_b128 v[0:3], v89
	v_add_f64 v[12:13], v[12:13], -v[28:29]
	v_add_f64 v[14:15], v[14:15], -v[30:31]
	v_mul_f64 v[20:21], v[20:21], s[2:3]
	v_mul_f64 v[22:23], v[22:23], s[2:3]
	;; [unrolled: 1-line block ×6, first 2 shown]
	v_add_f64 v[4:5], v[4:5], v[8:9]
	v_add_f64 v[6:7], v[6:7], v[10:11]
	s_waitcnt lgkmcnt(0)
	v_add_f64 v[0:1], v[0:1], v[40:41]
	v_add_f64 v[2:3], v[2:3], v[42:43]
	v_mul_f64 v[28:29], v[12:13], s[0:1]
	v_mul_f64 v[30:31], v[14:15], s[0:1]
	v_fma_f64 v[8:9], v[12:13], s[0:1], v[20:21]
	v_fma_f64 v[10:11], v[14:15], s[0:1], v[22:23]
	v_fma_f64 v[12:13], v[16:17], s[22:23], v[32:33]
	v_fma_f64 v[14:15], v[18:19], s[22:23], v[34:35]
	v_fma_f64 v[32:33], v[36:37], s[8:9], -v[32:33]
	v_fma_f64 v[34:35], v[38:39], s[8:9], -v[34:35]
	;; [unrolled: 1-line block ×6, first 2 shown]
	v_fma_f64 v[36:37], v[40:41], s[10:11], v[0:1]
	v_fma_f64 v[38:39], v[42:43], s[10:11], v[2:3]
	v_fma_f64 v[24:25], v[24:25], s[18:19], -v[28:29]
	v_fma_f64 v[26:27], v[26:27], s[18:19], -v[30:31]
	v_fma_f64 v[28:29], v[4:5], s[26:27], v[12:13]
	v_fma_f64 v[30:31], v[6:7], s[26:27], v[14:15]
	;; [unrolled: 1-line block ×6, first 2 shown]
	v_add_f64 v[44:45], v[8:9], v[36:37]
	v_add_f64 v[46:47], v[10:11], v[38:39]
	;; [unrolled: 1-line block ×7, first 2 shown]
	v_add_f64 v[6:7], v[46:47], -v[28:29]
	v_add_f64 v[8:9], v[42:43], v[20:21]
	v_add_f64 v[10:11], v[22:23], -v[40:41]
	v_add_f64 v[12:13], v[16:17], -v[34:35]
	v_add_f64 v[14:15], v[32:33], v[18:19]
	v_add_f64 v[16:17], v[34:35], v[16:17]
	v_add_f64 v[18:19], v[18:19], -v[32:33]
	v_add_f64 v[20:21], v[20:21], -v[42:43]
	v_add_f64 v[22:23], v[40:41], v[22:23]
	v_add_f64 v[24:25], v[44:45], -v[30:31]
	v_add_f64 v[26:27], v[28:29], v[46:47]
	ds_write_b128 v90, v[0:3]
	ds_write_b128 v90, v[4:7] offset:1120
	ds_write_b128 v90, v[8:11] offset:2240
	;; [unrolled: 1-line block ×6, first 2 shown]
	s_waitcnt lgkmcnt(0)
	s_barrier
	buffer_gl0_inv
	s_and_b32 exec_lo, exec_lo, vcc_lo
	s_cbranch_execz .LBB0_15
; %bb.14:
	v_add_co_u32 v24, s0, s14, v110
	v_add_co_ci_u32_e64 v25, null, s15, 0, s0
	v_mad_u64_u32 v[48:49], null, s6, v88, 0
	v_add_co_u32 v20, vcc_lo, 0x800, v24
	v_add_co_ci_u32_e32 v21, vcc_lo, 0, v25, vcc_lo
	v_add_co_u32 v28, vcc_lo, 0x1000, v24
	v_add_co_ci_u32_e32 v29, vcc_lo, 0, v25, vcc_lo
	v_add_co_u32 v36, vcc_lo, 0x1800, v24
	s_clause 0x5
	global_load_dwordx4 v[0:3], v110, s[14:15]
	global_load_dwordx4 v[4:7], v110, s[14:15] offset:784
	global_load_dwordx4 v[8:11], v110, s[14:15] offset:1568
	global_load_dwordx4 v[12:15], v[20:21], off offset:304
	global_load_dwordx4 v[16:19], v[20:21], off offset:1088
	;; [unrolled: 1-line block ×3, first 2 shown]
	v_add_co_ci_u32_e32 v37, vcc_lo, 0, v25, vcc_lo
	s_clause 0x3
	global_load_dwordx4 v[24:27], v[28:29], off offset:608
	global_load_dwordx4 v[28:31], v[28:29], off offset:1392
	;; [unrolled: 1-line block ×4, first 2 shown]
	v_mad_u64_u32 v[50:51], null, s4, v109, 0
	v_mov_b32_e32 v40, v49
	s_mul_i32 s2, s5, 0x310
	s_mul_hi_u32 s3, s4, 0x310
	s_mulk_i32 s4, 0x310
	s_add_i32 s3, s3, s2
	s_mov_b32 s0, 0xec259dc8
	v_mov_b32_e32 v41, v51
	s_mov_b32 s1, 0x3f60b7e6
	v_mad_u64_u32 v[42:43], null, s7, v88, v[40:41]
	v_mov_b32_e32 v49, v42
	v_mad_u64_u32 v[51:52], null, s5, v109, v[41:42]
	ds_read_b128 v[40:43], v90
	ds_read_b128 v[44:47], v90 offset:784
	v_lshlrev_b64 v[48:49], 4, v[48:49]
	v_lshlrev_b64 v[56:57], 4, v[50:51]
	v_add_co_u32 v58, vcc_lo, s12, v48
	v_add_co_ci_u32_e32 v59, vcc_lo, s13, v49, vcc_lo
	ds_read_b128 v[48:51], v90 offset:1568
	ds_read_b128 v[52:55], v90 offset:2352
	v_add_co_u32 v80, vcc_lo, v58, v56
	v_add_co_ci_u32_e32 v81, vcc_lo, v59, v57, vcc_lo
	ds_read_b128 v[56:59], v90 offset:3136
	ds_read_b128 v[60:63], v90 offset:3920
	;; [unrolled: 1-line block ×6, first 2 shown]
	v_add_co_u32 v82, vcc_lo, v80, s4
	v_add_co_ci_u32_e32 v83, vcc_lo, s3, v81, vcc_lo
	v_add_co_u32 v84, vcc_lo, v82, s4
	v_add_co_ci_u32_e32 v85, vcc_lo, s3, v83, vcc_lo
	;; [unrolled: 2-line block ×5, first 2 shown]
	s_waitcnt vmcnt(9) lgkmcnt(9)
	v_mul_f64 v[90:91], v[42:43], v[2:3]
	v_mul_f64 v[2:3], v[40:41], v[2:3]
	s_waitcnt vmcnt(8) lgkmcnt(8)
	v_mul_f64 v[92:93], v[46:47], v[6:7]
	v_mul_f64 v[6:7], v[44:45], v[6:7]
	;; [unrolled: 3-line block ×10, first 2 shown]
	v_fma_f64 v[40:41], v[40:41], v[0:1], v[90:91]
	v_fma_f64 v[2:3], v[0:1], v[42:43], -v[2:3]
	v_fma_f64 v[42:43], v[44:45], v[4:5], v[92:93]
	v_fma_f64 v[6:7], v[4:5], v[46:47], -v[6:7]
	;; [unrolled: 2-line block ×10, first 2 shown]
	v_add_co_u32 v60, vcc_lo, v110, s4
	v_mul_f64 v[0:1], v[40:41], s[0:1]
	v_mul_f64 v[2:3], v[2:3], s[0:1]
	;; [unrolled: 1-line block ×14, first 2 shown]
	v_add_co_ci_u32_e32 v61, vcc_lo, s3, v111, vcc_lo
	v_mul_f64 v[28:29], v[54:55], s[0:1]
	v_mul_f64 v[30:31], v[30:31], s[0:1]
	;; [unrolled: 1-line block ×6, first 2 shown]
	v_add_co_u32 v40, vcc_lo, v60, s4
	v_add_co_ci_u32_e32 v41, vcc_lo, s3, v61, vcc_lo
	v_add_co_u32 v42, vcc_lo, v40, s4
	v_add_co_ci_u32_e32 v43, vcc_lo, s3, v41, vcc_lo
	;; [unrolled: 2-line block ×3, first 2 shown]
	global_store_dwordx4 v[80:81], v[0:3], off
	global_store_dwordx4 v[82:83], v[4:7], off
	;; [unrolled: 1-line block ×10, first 2 shown]
.LBB0_15:
	s_endpgm
	.section	.rodata,"a",@progbits
	.p2align	6, 0x0
	.amdhsa_kernel bluestein_single_fwd_len490_dim1_dp_op_CI_CI
		.amdhsa_group_segment_fixed_size 23520
		.amdhsa_private_segment_fixed_size 0
		.amdhsa_kernarg_size 104
		.amdhsa_user_sgpr_count 6
		.amdhsa_user_sgpr_private_segment_buffer 1
		.amdhsa_user_sgpr_dispatch_ptr 0
		.amdhsa_user_sgpr_queue_ptr 0
		.amdhsa_user_sgpr_kernarg_segment_ptr 1
		.amdhsa_user_sgpr_dispatch_id 0
		.amdhsa_user_sgpr_flat_scratch_init 0
		.amdhsa_user_sgpr_private_segment_size 0
		.amdhsa_wavefront_size32 1
		.amdhsa_uses_dynamic_stack 0
		.amdhsa_system_sgpr_private_segment_wavefront_offset 0
		.amdhsa_system_sgpr_workgroup_id_x 1
		.amdhsa_system_sgpr_workgroup_id_y 0
		.amdhsa_system_sgpr_workgroup_id_z 0
		.amdhsa_system_sgpr_workgroup_info 0
		.amdhsa_system_vgpr_workitem_id 0
		.amdhsa_next_free_vgpr 199
		.amdhsa_next_free_sgpr 30
		.amdhsa_reserve_vcc 1
		.amdhsa_reserve_flat_scratch 0
		.amdhsa_float_round_mode_32 0
		.amdhsa_float_round_mode_16_64 0
		.amdhsa_float_denorm_mode_32 3
		.amdhsa_float_denorm_mode_16_64 3
		.amdhsa_dx10_clamp 1
		.amdhsa_ieee_mode 1
		.amdhsa_fp16_overflow 0
		.amdhsa_workgroup_processor_mode 1
		.amdhsa_memory_ordered 1
		.amdhsa_forward_progress 0
		.amdhsa_shared_vgpr_count 0
		.amdhsa_exception_fp_ieee_invalid_op 0
		.amdhsa_exception_fp_denorm_src 0
		.amdhsa_exception_fp_ieee_div_zero 0
		.amdhsa_exception_fp_ieee_overflow 0
		.amdhsa_exception_fp_ieee_underflow 0
		.amdhsa_exception_fp_ieee_inexact 0
		.amdhsa_exception_int_div_zero 0
	.end_amdhsa_kernel
	.text
.Lfunc_end0:
	.size	bluestein_single_fwd_len490_dim1_dp_op_CI_CI, .Lfunc_end0-bluestein_single_fwd_len490_dim1_dp_op_CI_CI
                                        ; -- End function
	.section	.AMDGPU.csdata,"",@progbits
; Kernel info:
; codeLenInByte = 10704
; NumSgprs: 32
; NumVgprs: 199
; ScratchSize: 0
; MemoryBound: 0
; FloatMode: 240
; IeeeMode: 1
; LDSByteSize: 23520 bytes/workgroup (compile time only)
; SGPRBlocks: 3
; VGPRBlocks: 24
; NumSGPRsForWavesPerEU: 32
; NumVGPRsForWavesPerEU: 199
; Occupancy: 4
; WaveLimiterHint : 1
; COMPUTE_PGM_RSRC2:SCRATCH_EN: 0
; COMPUTE_PGM_RSRC2:USER_SGPR: 6
; COMPUTE_PGM_RSRC2:TRAP_HANDLER: 0
; COMPUTE_PGM_RSRC2:TGID_X_EN: 1
; COMPUTE_PGM_RSRC2:TGID_Y_EN: 0
; COMPUTE_PGM_RSRC2:TGID_Z_EN: 0
; COMPUTE_PGM_RSRC2:TIDIG_COMP_CNT: 0
	.text
	.p2alignl 6, 3214868480
	.fill 48, 4, 3214868480
	.type	__hip_cuid_1d9e75275c2feb3,@object ; @__hip_cuid_1d9e75275c2feb3
	.section	.bss,"aw",@nobits
	.globl	__hip_cuid_1d9e75275c2feb3
__hip_cuid_1d9e75275c2feb3:
	.byte	0                               ; 0x0
	.size	__hip_cuid_1d9e75275c2feb3, 1

	.ident	"AMD clang version 19.0.0git (https://github.com/RadeonOpenCompute/llvm-project roc-6.4.0 25133 c7fe45cf4b819c5991fe208aaa96edf142730f1d)"
	.section	".note.GNU-stack","",@progbits
	.addrsig
	.addrsig_sym __hip_cuid_1d9e75275c2feb3
	.amdgpu_metadata
---
amdhsa.kernels:
  - .args:
      - .actual_access:  read_only
        .address_space:  global
        .offset:         0
        .size:           8
        .value_kind:     global_buffer
      - .actual_access:  read_only
        .address_space:  global
        .offset:         8
        .size:           8
        .value_kind:     global_buffer
      - .actual_access:  read_only
        .address_space:  global
        .offset:         16
        .size:           8
        .value_kind:     global_buffer
      - .actual_access:  read_only
        .address_space:  global
        .offset:         24
        .size:           8
        .value_kind:     global_buffer
      - .actual_access:  read_only
        .address_space:  global
        .offset:         32
        .size:           8
        .value_kind:     global_buffer
      - .offset:         40
        .size:           8
        .value_kind:     by_value
      - .address_space:  global
        .offset:         48
        .size:           8
        .value_kind:     global_buffer
      - .address_space:  global
        .offset:         56
        .size:           8
        .value_kind:     global_buffer
      - .address_space:  global
        .offset:         64
        .size:           8
        .value_kind:     global_buffer
      - .address_space:  global
        .offset:         72
        .size:           8
        .value_kind:     global_buffer
      - .offset:         80
        .size:           4
        .value_kind:     by_value
      - .address_space:  global
        .offset:         88
        .size:           8
        .value_kind:     global_buffer
      - .address_space:  global
        .offset:         96
        .size:           8
        .value_kind:     global_buffer
    .group_segment_fixed_size: 23520
    .kernarg_segment_align: 8
    .kernarg_segment_size: 104
    .language:       OpenCL C
    .language_version:
      - 2
      - 0
    .max_flat_workgroup_size: 210
    .name:           bluestein_single_fwd_len490_dim1_dp_op_CI_CI
    .private_segment_fixed_size: 0
    .sgpr_count:     32
    .sgpr_spill_count: 0
    .symbol:         bluestein_single_fwd_len490_dim1_dp_op_CI_CI.kd
    .uniform_work_group_size: 1
    .uses_dynamic_stack: false
    .vgpr_count:     199
    .vgpr_spill_count: 0
    .wavefront_size: 32
    .workgroup_processor_mode: 1
amdhsa.target:   amdgcn-amd-amdhsa--gfx1030
amdhsa.version:
  - 1
  - 2
...

	.end_amdgpu_metadata
